;; amdgpu-corpus repo=llvm/llvm-project kind=harvested arch=n/a opt=n/a
// NOTE: Assertions have been autogenerated by utils/update_mc_test_checks.py UTC_ARGS: --unique --sort --version 6
// RUN: not llvm-mc -triple=amdgcn %s -filetype=null 2>&1 | FileCheck --check-prefix=GCN %s

.amd_amdgpu_hsa_metadata
// GCN: :[[@LINE-1]]:25: error: .amd_amdgpu_hsa_metadata directive is not available on non-amdhsa OSes

.amd_amdgpu_pal_metadata
// GCN: :[[@LINE-1]]:25: error: .amd_amdgpu_pal_metadata directive is not available on non-amdpal OSes
